;; amdgpu-corpus repo=ROCm/rocFFT kind=compiled arch=gfx950 opt=O3
	.text
	.amdgcn_target "amdgcn-amd-amdhsa--gfx950"
	.amdhsa_code_object_version 6
	.protected	fft_rtc_back_len1152_factors_4_3_8_3_4_wgs_144_tpt_144_halfLds_dp_op_CI_CI_unitstride_sbrr_dirReg ; -- Begin function fft_rtc_back_len1152_factors_4_3_8_3_4_wgs_144_tpt_144_halfLds_dp_op_CI_CI_unitstride_sbrr_dirReg
	.globl	fft_rtc_back_len1152_factors_4_3_8_3_4_wgs_144_tpt_144_halfLds_dp_op_CI_CI_unitstride_sbrr_dirReg
	.p2align	8
	.type	fft_rtc_back_len1152_factors_4_3_8_3_4_wgs_144_tpt_144_halfLds_dp_op_CI_CI_unitstride_sbrr_dirReg,@function
fft_rtc_back_len1152_factors_4_3_8_3_4_wgs_144_tpt_144_halfLds_dp_op_CI_CI_unitstride_sbrr_dirReg: ; @fft_rtc_back_len1152_factors_4_3_8_3_4_wgs_144_tpt_144_halfLds_dp_op_CI_CI_unitstride_sbrr_dirReg
; %bb.0:
	s_load_dwordx4 s[4:7], s[0:1], 0x58
	s_load_dwordx4 s[8:11], s[0:1], 0x0
	;; [unrolled: 1-line block ×3, first 2 shown]
	v_mul_u32_u24_e32 v1, 0x1c8, v0
	v_add_u32_sdwa v6, s2, v1 dst_sel:DWORD dst_unused:UNUSED_PAD src0_sel:DWORD src1_sel:WORD_1
	v_mov_b32_e32 v2, 0
	s_waitcnt lgkmcnt(0)
	v_cmp_lt_u64_e64 s[2:3], s[10:11], 2
	v_mov_b32_e32 v7, v2
	s_and_b64 vcc, exec, s[2:3]
	v_mov_b64_e32 v[4:5], 0
	s_cbranch_vccnz .LBB0_8
; %bb.1:
	s_load_dwordx2 s[2:3], s[0:1], 0x10
	s_add_u32 s16, s14, 8
	s_addc_u32 s17, s15, 0
	s_add_u32 s18, s12, 8
	s_addc_u32 s19, s13, 0
	s_waitcnt lgkmcnt(0)
	s_add_u32 s20, s2, 8
	v_mov_b64_e32 v[4:5], 0
	s_addc_u32 s21, s3, 0
	s_mov_b64 s[22:23], 1
	v_mov_b64_e32 v[38:39], v[4:5]
.LBB0_2:                                ; =>This Inner Loop Header: Depth=1
	s_load_dwordx2 s[24:25], s[20:21], 0x0
                                        ; implicit-def: $vgpr40_vgpr41
	s_waitcnt lgkmcnt(0)
	v_or_b32_e32 v3, s25, v7
	v_cmp_ne_u64_e32 vcc, 0, v[2:3]
	s_and_saveexec_b64 s[2:3], vcc
	s_xor_b64 s[26:27], exec, s[2:3]
	s_cbranch_execz .LBB0_4
; %bb.3:                                ;   in Loop: Header=BB0_2 Depth=1
	v_cvt_f32_u32_e32 v1, s24
	v_cvt_f32_u32_e32 v3, s25
	s_sub_u32 s2, 0, s24
	s_subb_u32 s3, 0, s25
	v_fmac_f32_e32 v1, 0x4f800000, v3
	v_rcp_f32_e32 v1, v1
	s_nop 0
	v_mul_f32_e32 v1, 0x5f7ffffc, v1
	v_mul_f32_e32 v3, 0x2f800000, v1
	v_trunc_f32_e32 v3, v3
	v_fmac_f32_e32 v1, 0xcf800000, v3
	v_cvt_u32_f32_e32 v3, v3
	v_cvt_u32_f32_e32 v1, v1
	v_mul_lo_u32 v8, s2, v3
	v_mul_hi_u32 v10, s2, v1
	v_mul_lo_u32 v9, s3, v1
	v_add_u32_e32 v10, v10, v8
	v_mul_lo_u32 v12, s2, v1
	v_add_u32_e32 v13, v10, v9
	v_mul_hi_u32 v8, v1, v12
	v_mul_hi_u32 v11, v1, v13
	v_mul_lo_u32 v10, v1, v13
	v_mov_b32_e32 v9, v2
	v_lshl_add_u64 v[8:9], v[8:9], 0, v[10:11]
	v_mul_hi_u32 v11, v3, v12
	v_mul_lo_u32 v12, v3, v12
	v_add_co_u32_e32 v8, vcc, v8, v12
	v_mul_hi_u32 v10, v3, v13
	s_nop 0
	v_addc_co_u32_e32 v8, vcc, v9, v11, vcc
	v_mov_b32_e32 v9, v2
	s_nop 0
	v_addc_co_u32_e32 v11, vcc, 0, v10, vcc
	v_mul_lo_u32 v10, v3, v13
	v_lshl_add_u64 v[8:9], v[8:9], 0, v[10:11]
	v_add_co_u32_e32 v1, vcc, v1, v8
	v_mul_lo_u32 v10, s2, v1
	s_nop 0
	v_addc_co_u32_e32 v3, vcc, v3, v9, vcc
	v_mul_lo_u32 v8, s2, v3
	v_mul_hi_u32 v9, s2, v1
	v_add_u32_e32 v8, v9, v8
	v_mul_lo_u32 v9, s3, v1
	v_add_u32_e32 v12, v8, v9
	v_mul_hi_u32 v14, v3, v10
	v_mul_lo_u32 v15, v3, v10
	v_mul_hi_u32 v9, v1, v12
	v_mul_lo_u32 v8, v1, v12
	v_mul_hi_u32 v10, v1, v10
	v_mov_b32_e32 v11, v2
	v_lshl_add_u64 v[8:9], v[10:11], 0, v[8:9]
	v_add_co_u32_e32 v8, vcc, v8, v15
	v_mul_hi_u32 v13, v3, v12
	s_nop 0
	v_addc_co_u32_e32 v8, vcc, v9, v14, vcc
	v_mul_lo_u32 v10, v3, v12
	s_nop 0
	v_addc_co_u32_e32 v11, vcc, 0, v13, vcc
	v_mov_b32_e32 v9, v2
	v_lshl_add_u64 v[8:9], v[8:9], 0, v[10:11]
	v_add_co_u32_e32 v1, vcc, v1, v8
	v_mul_hi_u32 v10, v6, v1
	s_nop 0
	v_addc_co_u32_e32 v3, vcc, v3, v9, vcc
	v_mad_u64_u32 v[8:9], s[2:3], v6, v3, 0
	v_mov_b32_e32 v11, v2
	v_lshl_add_u64 v[8:9], v[10:11], 0, v[8:9]
	v_mad_u64_u32 v[12:13], s[2:3], v7, v1, 0
	v_add_co_u32_e32 v1, vcc, v8, v12
	v_mad_u64_u32 v[10:11], s[2:3], v7, v3, 0
	s_nop 0
	v_addc_co_u32_e32 v8, vcc, v9, v13, vcc
	v_mov_b32_e32 v9, v2
	s_nop 0
	v_addc_co_u32_e32 v11, vcc, 0, v11, vcc
	v_lshl_add_u64 v[8:9], v[8:9], 0, v[10:11]
	v_mul_lo_u32 v1, s25, v8
	v_mul_lo_u32 v3, s24, v9
	v_mad_u64_u32 v[10:11], s[2:3], s24, v8, 0
	v_add3_u32 v1, v11, v3, v1
	v_sub_u32_e32 v3, v7, v1
	v_mov_b32_e32 v11, s25
	v_sub_co_u32_e32 v14, vcc, v6, v10
	v_lshl_add_u64 v[12:13], v[8:9], 0, 1
	s_nop 0
	v_subb_co_u32_e64 v3, s[2:3], v3, v11, vcc
	v_subrev_co_u32_e64 v10, s[2:3], s24, v14
	v_subb_co_u32_e32 v1, vcc, v7, v1, vcc
	s_nop 0
	v_subbrev_co_u32_e64 v3, s[2:3], 0, v3, s[2:3]
	v_cmp_le_u32_e64 s[2:3], s25, v3
	v_cmp_le_u32_e32 vcc, s25, v1
	s_nop 0
	v_cndmask_b32_e64 v11, 0, -1, s[2:3]
	v_cmp_le_u32_e64 s[2:3], s24, v10
	s_nop 1
	v_cndmask_b32_e64 v10, 0, -1, s[2:3]
	v_cmp_eq_u32_e64 s[2:3], s25, v3
	s_nop 1
	v_cndmask_b32_e64 v3, v11, v10, s[2:3]
	v_lshl_add_u64 v[10:11], v[8:9], 0, 2
	v_cmp_ne_u32_e64 s[2:3], 0, v3
	s_nop 1
	v_cndmask_b32_e64 v3, v13, v11, s[2:3]
	v_cndmask_b32_e64 v11, 0, -1, vcc
	v_cmp_le_u32_e32 vcc, s24, v14
	s_nop 1
	v_cndmask_b32_e64 v13, 0, -1, vcc
	v_cmp_eq_u32_e32 vcc, s25, v1
	s_nop 1
	v_cndmask_b32_e32 v1, v11, v13, vcc
	v_cmp_ne_u32_e32 vcc, 0, v1
	v_cndmask_b32_e64 v1, v12, v10, s[2:3]
	s_nop 0
	v_cndmask_b32_e32 v41, v9, v3, vcc
	v_cndmask_b32_e32 v40, v8, v1, vcc
.LBB0_4:                                ;   in Loop: Header=BB0_2 Depth=1
	s_andn2_saveexec_b64 s[2:3], s[26:27]
	s_cbranch_execz .LBB0_6
; %bb.5:                                ;   in Loop: Header=BB0_2 Depth=1
	v_cvt_f32_u32_e32 v1, s24
	s_sub_i32 s26, 0, s24
	v_mov_b32_e32 v41, v2
	v_rcp_iflag_f32_e32 v1, v1
	s_nop 0
	v_mul_f32_e32 v1, 0x4f7ffffe, v1
	v_cvt_u32_f32_e32 v1, v1
	v_mul_lo_u32 v3, s26, v1
	v_mul_hi_u32 v3, v1, v3
	v_add_u32_e32 v1, v1, v3
	v_mul_hi_u32 v1, v6, v1
	v_mul_lo_u32 v3, v1, s24
	v_sub_u32_e32 v3, v6, v3
	v_add_u32_e32 v8, 1, v1
	v_subrev_u32_e32 v9, s24, v3
	v_cmp_le_u32_e32 vcc, s24, v3
	s_nop 1
	v_cndmask_b32_e32 v3, v3, v9, vcc
	v_cndmask_b32_e32 v1, v1, v8, vcc
	v_add_u32_e32 v8, 1, v1
	v_cmp_le_u32_e32 vcc, s24, v3
	s_nop 1
	v_cndmask_b32_e32 v40, v1, v8, vcc
.LBB0_6:                                ;   in Loop: Header=BB0_2 Depth=1
	s_or_b64 exec, exec, s[2:3]
	v_mad_u64_u32 v[8:9], s[2:3], v40, s24, 0
	s_load_dwordx2 s[2:3], s[18:19], 0x0
	v_mul_lo_u32 v1, v41, s24
	v_mul_lo_u32 v3, v40, s25
	s_load_dwordx2 s[24:25], s[16:17], 0x0
	s_add_u32 s22, s22, 1
	v_add3_u32 v1, v9, v3, v1
	v_sub_co_u32_e32 v3, vcc, v6, v8
	s_addc_u32 s23, s23, 0
	s_nop 0
	v_subb_co_u32_e32 v1, vcc, v7, v1, vcc
	s_add_u32 s16, s16, 8
	s_waitcnt lgkmcnt(0)
	v_mul_lo_u32 v6, s2, v1
	v_mul_lo_u32 v7, s3, v3
	v_mad_u64_u32 v[4:5], s[2:3], s2, v3, v[4:5]
	s_addc_u32 s17, s17, 0
	v_add3_u32 v5, v7, v5, v6
	v_mul_lo_u32 v1, s24, v1
	v_mul_lo_u32 v6, s25, v3
	v_mad_u64_u32 v[38:39], s[2:3], s24, v3, v[38:39]
	s_add_u32 s18, s18, 8
	v_add3_u32 v39, v6, v39, v1
	s_addc_u32 s19, s19, 0
	v_mov_b64_e32 v[6:7], s[10:11]
	s_add_u32 s20, s20, 8
	v_cmp_ge_u64_e32 vcc, s[22:23], v[6:7]
	s_addc_u32 s21, s21, 0
	s_cbranch_vccnz .LBB0_9
; %bb.7:                                ;   in Loop: Header=BB0_2 Depth=1
	v_mov_b64_e32 v[6:7], v[40:41]
	s_branch .LBB0_2
.LBB0_8:
	v_mov_b64_e32 v[38:39], v[4:5]
	v_mov_b64_e32 v[40:41], v[6:7]
.LBB0_9:
	s_load_dwordx2 s[0:1], s[0:1], 0x28
	s_lshl_b64 s[16:17], s[10:11], 3
	s_add_u32 s2, s14, s16
	s_addc_u32 s3, s15, s17
                                        ; implicit-def: $vgpr56
	s_waitcnt lgkmcnt(0)
	v_cmp_gt_u64_e32 vcc, s[0:1], v[40:41]
	v_cmp_le_u64_e64 s[0:1], s[0:1], v[40:41]
	s_and_saveexec_b64 s[10:11], s[0:1]
	s_xor_b64 s[0:1], exec, s[10:11]
; %bb.10:
	s_mov_b32 s10, 0x1c71c72
	v_mul_hi_u32 v1, v0, s10
	v_mul_u32_u24_e32 v1, 0x90, v1
	v_sub_u32_e32 v56, v0, v1
                                        ; implicit-def: $vgpr0
                                        ; implicit-def: $vgpr4_vgpr5
; %bb.11:
	s_or_saveexec_b64 s[10:11], s[0:1]
                                        ; implicit-def: $vgpr24_vgpr25
                                        ; implicit-def: $vgpr32_vgpr33
                                        ; implicit-def: $vgpr12_vgpr13
                                        ; implicit-def: $vgpr8_vgpr9
                                        ; implicit-def: $vgpr28_vgpr29
                                        ; implicit-def: $vgpr36_vgpr37
                                        ; implicit-def: $vgpr2_vgpr3
                                        ; implicit-def: $vgpr16_vgpr17
	s_xor_b64 exec, exec, s[10:11]
	s_cbranch_execz .LBB0_13
; %bb.12:
	s_add_u32 s0, s12, s16
	s_addc_u32 s1, s13, s17
	s_load_dwordx2 s[0:1], s[0:1], 0x0
	s_mov_b32 s12, 0x1c71c72
	s_waitcnt lgkmcnt(0)
	v_mul_lo_u32 v1, s1, v40
	v_mul_lo_u32 v6, s0, v41
	v_mad_u64_u32 v[2:3], s[0:1], s0, v40, 0
	v_add3_u32 v3, v3, v6, v1
	v_mul_hi_u32 v1, v0, s12
	v_mul_u32_u24_e32 v1, 0x90, v1
	v_sub_u32_e32 v56, v0, v1
	v_lshl_add_u64 v[0:1], v[2:3], 4, s[4:5]
	v_lshl_add_u64 v[0:1], v[4:5], 4, v[0:1]
	v_lshlrev_b32_e32 v2, 4, v56
	v_mov_b32_e32 v3, 0
	v_lshl_add_u64 v[4:5], v[0:1], 0, v[2:3]
	s_movk_i32 s0, 0x1000
	v_add_co_u32_e64 v18, s[0:1], s0, v4
	s_nop 1
	v_addc_co_u32_e64 v19, s[0:1], 0, v5, s[0:1]
	s_movk_i32 s0, 0x2000
	s_nop 0
	v_add_co_u32_e64 v20, s[0:1], s0, v4
	s_nop 1
	v_addc_co_u32_e64 v21, s[0:1], 0, v5, s[0:1]
	s_movk_i32 s0, 0x3000
	s_nop 0
	v_add_co_u32_e64 v42, s[0:1], s0, v4
	s_nop 1
	v_addc_co_u32_e64 v43, s[0:1], 0, v5, s[0:1]
	global_load_dwordx4 v[14:17], v[4:5], off
	global_load_dwordx4 v[6:9], v[4:5], off offset:2304
	global_load_dwordx4 v[22:25], v[18:19], off offset:512
	global_load_dwordx4 v[26:29], v[18:19], off offset:2816
	global_load_dwordx4 v[30:33], v[20:21], off offset:1024
	global_load_dwordx4 v[34:37], v[20:21], off offset:3328
	global_load_dwordx4 v[10:13], v[42:43], off offset:1536
	global_load_dwordx4 v[0:3], v[42:43], off offset:3840
.LBB0_13:
	s_or_b64 exec, exec, s[10:11]
	s_waitcnt vmcnt(3)
	v_add_f64 v[4:5], v[14:15], -v[30:31]
	s_waitcnt vmcnt(1)
	v_add_f64 v[10:11], v[22:23], -v[10:11]
	v_fma_f64 v[14:15], v[14:15], 2.0, -v[4:5]
	v_add_f64 v[30:31], v[24:25], -v[12:13]
	v_fma_f64 v[12:13], v[22:23], 2.0, -v[10:11]
	;; [unrolled: 2-line block ×3, first 2 shown]
	v_add_f64 v[14:15], v[30:31], v[4:5]
	v_add_f64 v[34:35], v[6:7], -v[34:35]
	s_waitcnt vmcnt(0)
	v_add_f64 v[18:19], v[26:27], -v[0:1]
	v_fma_f64 v[22:23], v[4:5], 2.0, -v[14:15]
	v_fma_f64 v[4:5], v[6:7], 2.0, -v[34:35]
	v_add_f64 v[42:43], v[28:29], -v[2:3]
	v_fma_f64 v[0:1], v[26:27], 2.0, -v[18:19]
	v_add_f64 v[0:1], v[4:5], -v[0:1]
	v_add_f64 v[2:3], v[34:35], v[42:43]
	v_lshl_add_u32 v26, v56, 5, 0
	v_add_u32_e32 v58, 0x90, v56
	s_movk_i32 s0, 0xffe8
	s_load_dwordx2 s[4:5], s[2:3], 0x0
	v_fma_f64 v[4:5], v[4:5], 2.0, -v[0:1]
	v_fma_f64 v[6:7], v[34:35], 2.0, -v[2:3]
	ds_write_b128 v26, v[20:23]
	ds_write_b128 v26, v[12:15] offset:16
	v_lshl_add_u32 v27, v58, 5, 0
	v_mad_i32_i24 v12, v56, s0, v26
	ds_write_b128 v27, v[4:7]
	ds_write_b128 v27, v[0:3] offset:16
	s_waitcnt lgkmcnt(0)
	s_barrier
	ds_read2_b64 v[4:7], v12 offset1:144
	v_add_u32_e32 v13, 0xc00, v12
	v_add_u32_e32 v12, 0x1800, v12
	ds_read2_b64 v[20:23], v13 offset1:144
	ds_read2_b64 v[12:15], v12 offset1:144
	v_mul_i32_i24_e32 v34, 0xffffffe8, v56
	s_movk_i32 s0, 0x60
	v_cmp_gt_u32_e64 s[0:1], s0, v56
	v_add_u32_e32 v57, v26, v34
                                        ; implicit-def: $vgpr34_vgpr35
	s_and_saveexec_b64 s[2:3], s[0:1]
	s_cbranch_execz .LBB0_15
; %bb.14:
	v_add_u32_e32 v0, 0x100, v57
	ds_read2st64_b64 v[0:3], v0 offset0:4 offset1:10
	ds_read_b64 v[34:35], v57 offset:8448
.LBB0_15:
	s_or_b64 exec, exec, s[2:3]
	v_add_f64 v[46:47], v[16:17], -v[32:33]
	v_fma_f64 v[16:17], v[16:17], 2.0, -v[46:47]
	v_fma_f64 v[24:25], v[24:25], 2.0, -v[30:31]
	v_add_f64 v[30:31], v[16:17], -v[24:25]
	v_add_f64 v[24:25], v[8:9], -v[36:37]
	;; [unrolled: 1-line block ×3, first 2 shown]
	v_fma_f64 v[10:11], v[8:9], 2.0, -v[24:25]
	v_fma_f64 v[8:9], v[28:29], 2.0, -v[42:43]
	v_add_f64 v[8:9], v[10:11], -v[8:9]
	v_fma_f64 v[44:45], v[16:17], 2.0, -v[30:31]
	v_fma_f64 v[16:17], v[10:11], 2.0, -v[8:9]
	v_add_f64 v[10:11], v[24:25], -v[18:19]
	v_fma_f64 v[46:47], v[46:47], 2.0, -v[32:33]
	v_fma_f64 v[18:19], v[24:25], 2.0, -v[10:11]
	v_add_u32_e32 v24, 0xc00, v57
	s_waitcnt lgkmcnt(0)
	s_barrier
	ds_write_b128 v26, v[44:47]
	ds_write_b128 v26, v[30:33] offset:16
	ds_write_b128 v27, v[16:19]
	ds_write_b128 v27, v[8:11] offset:16
	s_waitcnt lgkmcnt(0)
	s_barrier
	ds_read2_b64 v[28:31], v24 offset1:144
	v_add_u32_e32 v24, 0x1800, v57
	ds_read2_b64 v[16:19], v57 offset1:144
	ds_read2_b64 v[24:27], v24 offset1:144
                                        ; implicit-def: $vgpr32_vgpr33
	s_and_saveexec_b64 s[2:3], s[0:1]
	s_cbranch_execz .LBB0_17
; %bb.16:
	v_add_u32_e32 v8, 0x100, v57
	ds_read2st64_b64 v[8:11], v8 offset0:4 offset1:10
	ds_read_b64 v[32:33], v57 offset:8448
.LBB0_17:
	s_or_b64 exec, exec, s[2:3]
	v_and_b32_e32 v60, 3, v56
	v_lshlrev_b32_e32 v36, 5, v60
	global_load_dwordx4 v[64:67], v36, s[8:9]
	global_load_dwordx4 v[68:71], v36, s[8:9] offset:16
	v_lshrrev_b32_e32 v36, 2, v56
	v_lshrrev_b32_e32 v37, 2, v58
	v_mul_u32_u24_e32 v36, 12, v36
	v_mul_u32_u24_e32 v37, 12, v37
	v_or_b32_e32 v36, v36, v60
	v_or_b32_e32 v37, v37, v60
	v_lshl_add_u32 v62, v36, 3, 0
	v_lshl_add_u32 v61, v37, 3, 0
	s_mov_b32 s10, 0xe8584caa
	s_mov_b32 s11, 0xbfebb67a
	v_add_u32_e32 v59, 0x120, v56
	s_mov_b32 s3, 0x3febb67a
	s_mov_b32 s2, s10
	s_waitcnt lgkmcnt(0)
	s_barrier
	s_waitcnt vmcnt(1)
	v_mul_f64 v[50:51], v[28:29], v[66:67]
	s_waitcnt vmcnt(0)
	v_mul_f64 v[52:53], v[24:25], v[70:71]
	v_mul_f64 v[36:37], v[20:21], v[66:67]
	;; [unrolled: 1-line block ×7, first 2 shown]
	v_fmac_f64_e32 v[50:51], v[20:21], v[64:65]
	v_fmac_f64_e32 v[52:53], v[12:13], v[68:69]
	v_mul_f64 v[74:75], v[22:23], v[66:67]
	v_mul_f64 v[76:77], v[14:15], v[70:71]
	v_mul_f64 v[66:67], v[2:3], v[66:67]
	v_fmac_f64_e32 v[42:43], v[22:23], v[64:65]
	v_mul_f64 v[22:23], v[34:35], v[70:71]
	v_fma_f64 v[54:55], v[28:29], v[64:65], -v[36:37]
	v_fmac_f64_e32 v[46:47], v[14:15], v[68:69]
	v_fma_f64 v[14:15], v[24:25], v[68:69], -v[72:73]
	v_fmac_f64_e32 v[44:45], v[2:3], v[64:65]
	v_fmac_f64_e32 v[48:49], v[34:35], v[68:69]
	v_add_f64 v[24:25], v[50:51], v[52:53]
	v_fma_f64 v[28:29], v[30:31], v[64:65], -v[74:75]
	v_fma_f64 v[12:13], v[26:27], v[68:69], -v[76:77]
	;; [unrolled: 1-line block ×4, first 2 shown]
	v_add_f64 v[10:11], v[4:5], v[50:51]
	v_add_f64 v[26:27], v[54:55], -v[14:15]
	v_add_f64 v[30:31], v[6:7], v[42:43]
	v_add_f64 v[32:33], v[42:43], v[46:47]
	;; [unrolled: 1-line block ×3, first 2 shown]
	v_fma_f64 v[24:25], -0.5, v[24:25], v[4:5]
	v_add_f64 v[34:35], v[28:29], -v[12:13]
	v_add_f64 v[2:3], v[20:21], -v[22:23]
	v_add_f64 v[10:11], v[10:11], v[52:53]
	v_add_f64 v[30:31], v[30:31], v[46:47]
	v_fmac_f64_e32 v[6:7], -0.5, v[32:33]
	v_fma_f64 v[4:5], -0.5, v[36:37], v[0:1]
	v_fma_f64 v[32:33], s[10:11], v[26:27], v[24:25]
	v_fmac_f64_e32 v[24:25], s[2:3], v[26:27]
	v_fma_f64 v[26:27], s[10:11], v[34:35], v[6:7]
	v_fmac_f64_e32 v[6:7], s[2:3], v[34:35]
	v_fma_f64 v[36:37], s[2:3], v[2:3], v[4:5]
	ds_write2_b64 v62, v[10:11], v[32:33] offset1:4
	ds_write_b64 v62, v[24:25] offset:64
	ds_write2_b64 v61, v[30:31], v[26:27] offset1:4
	ds_write_b64 v61, v[6:7] offset:64
	v_lshrrev_b32_e32 v30, 2, v59
	s_and_saveexec_b64 s[12:13], s[0:1]
	s_cbranch_execz .LBB0_19
; %bb.18:
	v_mul_u32_u24_e32 v6, 12, v30
	v_mul_f64 v[2:3], v[2:3], s[2:3]
	v_or_b32_e32 v6, v6, v60
	v_add_f64 v[0:1], v[0:1], v[44:45]
	v_lshl_add_u32 v6, v6, 3, 0
	v_add_f64 v[2:3], v[4:5], -v[2:3]
	v_add_f64 v[0:1], v[0:1], v[48:49]
	ds_write2_b64 v6, v[0:1], v[2:3] offset1:4
	ds_write_b64 v6, v[36:37] offset:64
.LBB0_19:
	s_or_b64 exec, exec, s[12:13]
	v_add_f64 v[0:1], v[16:17], v[54:55]
	v_add_f64 v[34:35], v[0:1], v[14:15]
	;; [unrolled: 1-line block ×3, first 2 shown]
	v_fma_f64 v[54:55], -0.5, v[0:1], v[16:17]
	v_add_f64 v[0:1], v[50:51], -v[52:53]
	v_fma_f64 v[50:51], s[2:3], v[0:1], v[54:55]
	v_fmac_f64_e32 v[54:55], s[10:11], v[0:1]
	v_add_f64 v[0:1], v[18:19], v[28:29]
	v_add_f64 v[52:53], v[0:1], v[12:13]
	;; [unrolled: 1-line block ×3, first 2 shown]
	v_fmac_f64_e32 v[18:19], -0.5, v[0:1]
	v_add_f64 v[0:1], v[42:43], -v[46:47]
	v_fma_f64 v[64:65], s[2:3], v[0:1], v[18:19]
	v_fmac_f64_e32 v[18:19], s[10:11], v[0:1]
	v_add_f64 v[0:1], v[20:21], v[22:23]
	v_add_u32_e32 v28, 0x800, v57
	v_add_u32_e32 v32, 0x1000, v57
	;; [unrolled: 1-line block ×3, first 2 shown]
	v_fma_f64 v[24:25], -0.5, v[0:1], v[8:9]
	s_waitcnt lgkmcnt(0)
	s_barrier
	ds_read2_b64 v[0:3], v57 offset1:144
	ds_read2_b64 v[14:17], v28 offset0:32 offset1:176
	ds_read2_b64 v[4:7], v32 offset0:64 offset1:208
	;; [unrolled: 1-line block ×3, first 2 shown]
	v_add_f64 v[26:27], v[44:45], -v[48:49]
	v_fma_f64 v[42:43], s[10:11], v[26:27], v[24:25]
	s_waitcnt lgkmcnt(0)
	s_barrier
	ds_write2_b64 v62, v[34:35], v[50:51] offset1:4
	ds_write_b64 v62, v[54:55] offset:64
	ds_write2_b64 v61, v[52:53], v[64:65] offset1:4
	ds_write_b64 v61, v[18:19] offset:64
	s_and_saveexec_b64 s[10:11], s[0:1]
	s_cbranch_execz .LBB0_21
; %bb.20:
	v_add_f64 v[8:9], v[8:9], v[20:21]
	v_mul_u32_u24_e32 v20, 12, v30
	v_mul_f64 v[18:19], v[26:27], s[2:3]
	v_or_b32_e32 v20, v20, v60
	v_add_f64 v[8:9], v[8:9], v[22:23]
	v_add_f64 v[18:19], v[18:19], v[24:25]
	v_lshl_add_u32 v20, v20, 3, 0
	ds_write2_b64 v20, v[8:9], v[18:19] offset1:4
	ds_write_b64 v20, v[42:43] offset:64
.LBB0_21:
	s_or_b64 exec, exec, s[10:11]
	s_movk_i32 s2, 0xab
	v_mul_lo_u16_sdwa v8, v56, s2 dst_sel:DWORD dst_unused:UNUSED_PAD src0_sel:BYTE_0 src1_sel:DWORD
	v_lshrrev_b16_e32 v8, 11, v8
	v_mul_lo_u16_e32 v9, 12, v8
	v_sub_u16_e32 v9, v56, v9
	v_mov_b32_e32 v18, 7
	v_mul_u32_u24_sdwa v18, v9, v18 dst_sel:DWORD dst_unused:UNUSED_PAD src0_sel:BYTE_0 src1_sel:DWORD
	v_lshlrev_b32_e32 v22, 4, v18
	s_waitcnt lgkmcnt(0)
	s_barrier
	global_load_dwordx4 v[18:21], v22, s[8:9] offset:144
	global_load_dwordx4 v[48:51], v22, s[8:9] offset:160
	;; [unrolled: 1-line block ×7, first 2 shown]
	ds_read2_b64 v[76:79], v28 offset0:32 offset1:176
	ds_read2_b64 v[28:31], v57 offset1:144
	ds_read2_b64 v[32:35], v32 offset0:64 offset1:208
	ds_read2_b64 v[80:83], v46 offset0:96 offset1:240
	v_mul_u32_u24_e32 v8, 0x60, v8
	v_or_b32_sdwa v8, v8, v9 dst_sel:DWORD dst_unused:UNUSED_PAD src0_sel:DWORD src1_sel:BYTE_0
	v_lshl_add_u32 v54, v8, 3, 0
	s_mov_b32 s2, 0x667f3bcd
	s_mov_b32 s3, 0x3fe6a09e
	;; [unrolled: 1-line block ×4, first 2 shown]
	v_add_u32_e32 v55, 0xc00, v57
	s_waitcnt lgkmcnt(0)
	s_barrier
	s_waitcnt vmcnt(6)
	v_mul_f64 v[8:9], v[76:77], v[20:21]
	v_mul_f64 v[20:21], v[14:15], v[20:21]
	s_waitcnt vmcnt(5)
	v_mul_f64 v[22:23], v[78:79], v[50:51]
	v_mul_f64 v[44:45], v[16:17], v[50:51]
	s_waitcnt vmcnt(4)
	v_mul_f64 v[50:51], v[30:31], v[62:63]
	v_mul_f64 v[52:53], v[2:3], v[62:63]
	v_fmac_f64_e32 v[8:9], v[14:15], v[18:19]
	v_fma_f64 v[14:15], v[76:77], v[18:19], -v[20:21]
	s_waitcnt vmcnt(3)
	v_mul_f64 v[18:19], v[34:35], v[66:67]
	v_mul_f64 v[20:21], v[6:7], v[66:67]
	v_fmac_f64_e32 v[22:23], v[16:17], v[48:49]
	s_waitcnt vmcnt(2)
	v_mul_f64 v[16:17], v[80:81], v[70:71]
	v_mul_f64 v[62:63], v[10:11], v[70:71]
	v_fma_f64 v[44:45], v[78:79], v[48:49], -v[44:45]
	s_waitcnt vmcnt(1)
	v_mul_f64 v[48:49], v[32:33], v[26:27]
	s_waitcnt vmcnt(0)
	v_mul_f64 v[66:67], v[82:83], v[74:75]
	v_mul_f64 v[70:71], v[12:13], v[74:75]
	v_fmac_f64_e32 v[50:51], v[2:3], v[60:61]
	v_fma_f64 v[2:3], v[30:31], v[60:61], -v[52:53]
	v_fmac_f64_e32 v[18:19], v[6:7], v[64:65]
	v_fma_f64 v[20:21], v[34:35], v[64:65], -v[20:21]
	;; [unrolled: 2-line block ×3, first 2 shown]
	v_fmac_f64_e32 v[66:67], v[12:13], v[72:73]
	v_fmac_f64_e32 v[48:49], v[4:5], v[24:25]
	v_fma_f64 v[30:31], v[82:83], v[72:73], -v[70:71]
	v_add_f64 v[34:35], v[0:1], -v[48:49]
	v_add_f64 v[6:7], v[8:9], -v[16:17]
	;; [unrolled: 1-line block ×7, first 2 shown]
	v_fma_f64 v[0:1], v[0:1], 2.0, -v[34:35]
	v_fma_f64 v[8:9], v[8:9], 2.0, -v[6:7]
	;; [unrolled: 1-line block ×5, first 2 shown]
	v_add_f64 v[50:51], v[34:35], v[12:13]
	v_add_f64 v[60:61], v[10:11], v[20:21]
	v_fma_f64 v[22:23], v[44:45], 2.0, -v[20:21]
	v_add_f64 v[62:63], v[16:17], -v[18:19]
	v_add_f64 v[8:9], v[0:1], -v[8:9]
	v_fma_f64 v[18:19], v[34:35], 2.0, -v[50:51]
	v_add_f64 v[34:35], v[48:49], -v[2:3]
	v_fma_f64 v[52:53], v[10:11], 2.0, -v[60:61]
	;; [unrolled: 2-line block ×3, first 2 shown]
	v_fma_f64 v[2:3], s[2:3], v[60:61], v[50:51]
	v_fma_f64 v[10:11], v[0:1], 2.0, -v[8:9]
	v_fma_f64 v[16:17], v[48:49], 2.0, -v[34:35]
	v_fma_f64 v[20:21], s[10:11], v[52:53], v[18:19]
	v_add_f64 v[0:1], v[8:9], v[44:45]
	v_fmac_f64_e32 v[2:3], s[2:3], v[62:63]
	v_add_f64 v[16:17], v[10:11], -v[16:17]
	v_fmac_f64_e32 v[20:21], s[2:3], v[64:65]
	v_fma_f64 v[8:9], v[8:9], 2.0, -v[0:1]
	v_fma_f64 v[22:23], v[50:51], 2.0, -v[2:3]
	v_fma_f64 v[10:11], v[10:11], 2.0, -v[16:17]
	v_fma_f64 v[18:19], v[18:19], 2.0, -v[20:21]
	ds_write2_b64 v54, v[0:1], v[2:3] offset0:72 offset1:84
	ds_write2_b64 v54, v[8:9], v[22:23] offset0:24 offset1:36
	ds_write2_b64 v54, v[16:17], v[20:21] offset0:48 offset1:60
	ds_write2_b64 v54, v[10:11], v[18:19] offset1:12
	s_waitcnt lgkmcnt(0)
	s_barrier
	ds_read2_b64 v[8:11], v57 offset1:144
	ds_read2_b64 v[20:23], v55 offset1:144
	;; [unrolled: 1-line block ×3, first 2 shown]
	v_mul_f64 v[50:51], v[52:53], s[2:3]
	v_mul_f64 v[52:53], v[64:65], s[2:3]
	;; [unrolled: 1-line block ×4, first 2 shown]
	s_and_saveexec_b64 s[2:3], s[0:1]
	s_cbranch_execz .LBB0_23
; %bb.22:
	v_add_u32_e32 v0, 0x100, v57
	ds_read2st64_b64 v[0:3], v0 offset0:4 offset1:10
	ds_read_b64 v[36:37], v57 offset:8448
.LBB0_23:
	s_or_b64 exec, exec, s[2:3]
	v_mul_f64 v[4:5], v[4:5], v[26:27]
	v_fma_f64 v[4:5], v[32:33], v[24:25], -v[4:5]
	v_add_f64 v[4:5], v[28:29], -v[4:5]
	v_fma_f64 v[24:25], v[28:29], 2.0, -v[4:5]
	v_fma_f64 v[12:13], v[14:15], 2.0, -v[12:13]
	v_add_f64 v[12:13], v[24:25], -v[12:13]
	v_fma_f64 v[14:15], v[24:25], 2.0, -v[12:13]
	v_add_f64 v[24:25], v[4:5], -v[6:7]
	v_fma_f64 v[4:5], v[4:5], 2.0, -v[24:25]
	v_fma_f64 v[6:7], v[30:31], 2.0, -v[44:45]
	v_add_f64 v[26:27], v[14:15], -v[6:7]
	v_add_f64 v[6:7], v[4:5], -v[52:53]
	;; [unrolled: 1-line block ×3, first 2 shown]
	v_add_f64 v[6:7], v[24:25], v[48:49]
	v_add_f64 v[6:7], v[6:7], -v[46:47]
	v_fma_f64 v[14:15], v[14:15], 2.0, -v[26:27]
	v_fma_f64 v[30:31], v[4:5], 2.0, -v[28:29]
	v_add_f64 v[4:5], v[12:13], -v[34:35]
	v_fma_f64 v[24:25], v[24:25], 2.0, -v[6:7]
	v_fma_f64 v[12:13], v[12:13], 2.0, -v[4:5]
	s_waitcnt lgkmcnt(0)
	s_barrier
	ds_write2_b64 v54, v[14:15], v[30:31] offset1:12
	ds_write2_b64 v54, v[12:13], v[24:25] offset0:24 offset1:36
	ds_write2_b64 v54, v[26:27], v[28:29] offset0:48 offset1:60
	;; [unrolled: 1-line block ×3, first 2 shown]
	v_add_u32_e32 v24, 0x1800, v57
	s_waitcnt lgkmcnt(0)
	s_barrier
	ds_read2_b64 v[12:15], v57 offset1:144
	ds_read2_b64 v[28:31], v55 offset1:144
	;; [unrolled: 1-line block ×3, first 2 shown]
	s_and_saveexec_b64 s[2:3], s[0:1]
	s_cbranch_execz .LBB0_25
; %bb.24:
	v_add_u32_e32 v4, 0x100, v57
	ds_read2st64_b64 v[4:7], v4 offset0:4 offset1:10
	ds_read_b64 v[42:43], v57 offset:8448
.LBB0_25:
	s_or_b64 exec, exec, s[2:3]
	v_add_u32_e32 v32, 0xffffffa0, v56
	v_cndmask_b32_e64 v34, v32, v56, s[0:1]
	v_lshlrev_b32_e32 v32, 1, v34
	v_mov_b32_e32 v33, 0
	v_lshl_add_u64 v[32:33], v[32:33], 4, s[8:9]
	s_mov_b32 s2, 0xaaab
	global_load_dwordx4 v[50:53], v[32:33], off offset:1488
	global_load_dwordx4 v[44:47], v[32:33], off offset:1472
	v_mul_u32_u24_sdwa v32, v58, s2 dst_sel:DWORD dst_unused:UNUSED_PAD src0_sel:WORD_0 src1_sel:DWORD
	v_lshrrev_b32_e32 v32, 22, v32
	v_mul_lo_u16_e32 v33, 0x60, v32
	v_sub_u16_e32 v33, v58, v33
	v_lshlrev_b32_e32 v35, 5, v33
	global_load_dwordx4 v[60:63], v35, s[8:9] offset:1488
	global_load_dwordx4 v[64:67], v35, s[8:9] offset:1472
	v_mul_u32_u24_sdwa v35, v59, s2 dst_sel:DWORD dst_unused:UNUSED_PAD src0_sel:WORD_0 src1_sel:DWORD
	v_lshrrev_b32_e32 v35, 22, v35
	v_mul_lo_u16_e32 v35, 0x60, v35
	v_sub_u16_e32 v59, v59, v35
	v_lshlrev_b32_e32 v35, 5, v59
	global_load_dwordx4 v[68:71], v35, s[8:9] offset:1472
	global_load_dwordx4 v[72:75], v35, s[8:9] offset:1488
	s_movk_i32 s2, 0x5f
	v_mov_b32_e32 v35, 0x900
	v_cmp_lt_u32_e64 s[2:3], s2, v56
	v_lshlrev_b32_e32 v34, 3, v34
	v_mul_u32_u24_e32 v32, 0x900, v32
	v_cndmask_b32_e64 v35, 0, v35, s[2:3]
	v_lshlrev_b32_e32 v33, 3, v33
	v_add3_u32 v48, 0, v35, v34
	v_add3_u32 v49, 0, v32, v33
	s_mov_b32 s10, 0xe8584caa
	s_mov_b32 s11, 0xbfebb67a
	;; [unrolled: 1-line block ×4, first 2 shown]
	s_waitcnt lgkmcnt(0)
	s_barrier
	s_waitcnt vmcnt(5)
	v_mul_f64 v[34:35], v[24:25], v[52:53]
	s_waitcnt vmcnt(4)
	v_mul_f64 v[32:33], v[28:29], v[46:47]
	v_mul_f64 v[46:47], v[20:21], v[46:47]
	;; [unrolled: 1-line block ×3, first 2 shown]
	v_fmac_f64_e32 v[32:33], v[20:21], v[44:45]
	v_fma_f64 v[44:45], v[28:29], v[44:45], -v[46:47]
	v_fmac_f64_e32 v[34:35], v[16:17], v[50:51]
	s_waitcnt vmcnt(2)
	v_mul_f64 v[16:17], v[30:31], v[66:67]
	v_mul_f64 v[28:29], v[26:27], v[62:63]
	v_fma_f64 v[46:47], v[24:25], v[50:51], -v[52:53]
	v_mul_f64 v[50:51], v[22:23], v[66:67]
	v_mul_f64 v[52:53], v[18:19], v[62:63]
	s_waitcnt vmcnt(1)
	v_mul_f64 v[20:21], v[6:7], v[70:71]
	v_mul_f64 v[54:55], v[2:3], v[70:71]
	s_waitcnt vmcnt(0)
	v_mul_f64 v[62:63], v[36:37], v[74:75]
	v_add_f64 v[70:71], v[32:33], v[34:35]
	v_fmac_f64_e32 v[16:17], v[22:23], v[64:65]
	v_fmac_f64_e32 v[28:29], v[18:19], v[60:61]
	v_mul_f64 v[24:25], v[42:43], v[74:75]
	v_add_f64 v[66:67], v[8:9], v[32:33]
	v_add_f64 v[74:75], v[44:45], -v[46:47]
	v_fma_f64 v[30:31], v[30:31], v[64:65], -v[50:51]
	v_fma_f64 v[18:19], v[26:27], v[60:61], -v[52:53]
	;; [unrolled: 1-line block ×4, first 2 shown]
	v_fma_f64 v[6:7], -0.5, v[70:71], v[8:9]
	v_add_f64 v[42:43], v[16:17], v[28:29]
	v_fmac_f64_e32 v[20:21], v[2:3], v[68:69]
	v_fmac_f64_e32 v[24:25], v[36:37], v[72:73]
	v_add_f64 v[2:3], v[66:67], v[34:35]
	v_fma_f64 v[8:9], s[10:11], v[74:75], v[6:7]
	v_add_f64 v[36:37], v[10:11], v[16:17]
	v_add_f64 v[50:51], v[30:31], -v[18:19]
	v_fmac_f64_e32 v[10:11], -0.5, v[42:43]
	v_fmac_f64_e32 v[6:7], s[12:13], v[74:75]
	v_add_f64 v[36:37], v[36:37], v[28:29]
	ds_write2_b64 v48, v[2:3], v[8:9] offset1:96
	ds_write_b64 v48, v[6:7] offset:1536
	v_fma_f64 v[2:3], s[10:11], v[50:51], v[10:11]
	v_fmac_f64_e32 v[10:11], s[12:13], v[50:51]
	ds_write2_b64 v49, v[36:37], v[2:3] offset1:96
	ds_write_b64 v49, v[10:11] offset:1536
	v_lshl_add_u32 v36, v59, 3, 0
	s_and_saveexec_b64 s[2:3], s[0:1]
	s_cbranch_execz .LBB0_27
; %bb.26:
	v_add_f64 v[6:7], v[20:21], v[24:25]
	v_add_f64 v[2:3], v[22:23], -v[26:27]
	v_fma_f64 v[6:7], -0.5, v[6:7], v[0:1]
	v_add_f64 v[0:1], v[0:1], v[20:21]
	v_fma_f64 v[8:9], s[12:13], v[2:3], v[6:7]
	v_fmac_f64_e32 v[6:7], s[10:11], v[2:3]
	v_add_f64 v[0:1], v[0:1], v[24:25]
	v_add_u32_e32 v2, 0x1800, v36
	ds_write2_b64 v2, v[0:1], v[6:7] offset0:96 offset1:192
	ds_write_b64 v36, v[8:9] offset:8448
.LBB0_27:
	s_or_b64 exec, exec, s[2:3]
	v_add_f64 v[0:1], v[12:13], v[44:45]
	v_add_f64 v[42:43], v[0:1], v[46:47]
	;; [unrolled: 1-line block ×3, first 2 shown]
	v_fma_f64 v[44:45], -0.5, v[0:1], v[12:13]
	v_add_f64 v[0:1], v[32:33], -v[34:35]
	v_fma_f64 v[32:33], s[12:13], v[0:1], v[44:45]
	v_fmac_f64_e32 v[44:45], s[10:11], v[0:1]
	v_add_f64 v[0:1], v[14:15], v[30:31]
	v_add_f64 v[34:35], v[0:1], v[18:19]
	;; [unrolled: 1-line block ×3, first 2 shown]
	v_add_u32_e32 v6, 0x800, v57
	v_fmac_f64_e32 v[14:15], -0.5, v[0:1]
	v_add_f64 v[0:1], v[16:17], -v[28:29]
	s_waitcnt lgkmcnt(0)
	s_barrier
	ds_read2_b64 v[10:13], v6 offset0:32 offset1:176
	v_add_u32_e32 v6, 0x1000, v57
	v_add_u32_e32 v16, 0x1800, v57
	v_fma_f64 v[28:29], s[12:13], v[0:1], v[14:15]
	v_fmac_f64_e32 v[14:15], s[10:11], v[0:1]
	ds_read2_b64 v[0:3], v57 offset1:144
	ds_read2_b64 v[6:9], v6 offset0:64 offset1:208
	ds_read2_b64 v[16:19], v16 offset0:96 offset1:240
	s_waitcnt lgkmcnt(0)
	s_barrier
	ds_write2_b64 v48, v[42:43], v[32:33] offset1:96
	ds_write_b64 v48, v[44:45] offset:1536
	ds_write2_b64 v49, v[34:35], v[28:29] offset1:96
	ds_write_b64 v49, v[14:15] offset:1536
	s_and_saveexec_b64 s[2:3], s[0:1]
	s_cbranch_execz .LBB0_29
; %bb.28:
	v_add_f64 v[14:15], v[4:5], v[22:23]
	v_add_f64 v[22:23], v[22:23], v[26:27]
	v_fmac_f64_e32 v[4:5], -0.5, v[22:23]
	v_add_f64 v[20:21], v[20:21], -v[24:25]
	s_mov_b32 s1, 0x3febb67a
	s_mov_b32 s0, 0xe8584caa
	v_fma_f64 v[22:23], s[0:1], v[20:21], v[4:5]
	s_mov_b32 s1, 0xbfebb67a
	v_add_f64 v[14:15], v[14:15], v[26:27]
	v_fmac_f64_e32 v[4:5], s[0:1], v[20:21]
	v_add_u32_e32 v20, 0x1800, v36
	ds_write2_b64 v20, v[14:15], v[22:23] offset0:96 offset1:192
	ds_write_b64 v36, v[4:5] offset:8448
.LBB0_29:
	s_or_b64 exec, exec, s[2:3]
	s_waitcnt lgkmcnt(0)
	s_barrier
	s_and_saveexec_b64 s[0:1], vcc
	s_cbranch_execz .LBB0_31
; %bb.30:
	v_mul_u32_u24_e32 v4, 3, v58
	v_lshlrev_b32_e32 v4, 4, v4
	v_mov_b32_e32 v5, 0
	v_lshl_add_u64 v[14:15], s[8:9], 0, v[4:5]
	s_mov_b64 s[2:3], 0x11c0
	v_lshl_add_u64 v[32:33], v[14:15], 0, s[2:3]
	v_add_co_u32_e32 v14, vcc, 0x1000, v14
	v_mul_u32_u24_e32 v4, 3, v56
	s_nop 0
	v_addc_co_u32_e32 v15, vcc, 0, v15, vcc
	v_lshlrev_b32_e32 v4, 4, v4
	s_movk_i32 s0, 0x1000
	global_load_dwordx4 v[20:23], v[32:33], off offset:32
	global_load_dwordx4 v[24:27], v[32:33], off offset:16
	;; [unrolled: 1-line block ×3, first 2 shown]
	v_lshl_add_u64 v[14:15], s[8:9], 0, v[4:5]
	v_lshl_add_u64 v[36:37], v[14:15], 0, s[2:3]
	v_add_co_u32_e32 v14, vcc, s0, v14
	v_mul_lo_u32 v4, s5, v40
	s_nop 0
	v_addc_co_u32_e32 v15, vcc, 0, v15, vcc
	global_load_dwordx4 v[32:35], v[36:37], off offset:16
	global_load_dwordx4 v[42:45], v[14:15], off offset:448
	;; [unrolled: 1-line block ×3, first 2 shown]
	v_add_u32_e32 v15, 0x1000, v57
	v_mul_lo_u32 v14, s4, v41
	v_mad_u64_u32 v[36:37], s[2:3], s4, v40, 0
	ds_read2_b64 v[50:53], v57 offset1:144
	v_add_u32_e32 v40, 0x800, v57
	v_add_u32_e32 v41, 0x1800, v57
	ds_read2_b64 v[58:61], v15 offset0:64 offset1:208
	ds_read2_b64 v[62:65], v40 offset0:32 offset1:176
	;; [unrolled: 1-line block ×3, first 2 shown]
	v_add3_u32 v37, v37, v14, v4
	s_mov_b32 s1, 0x38e38e39
	v_mul_hi_u32 v4, v56, s1
	v_lshrrev_b32_e32 v4, 6, v4
	v_mul_u32_u24_e32 v4, 0x120, v4
	v_sub_u32_e32 v4, v56, v4
	v_lshlrev_b32_e32 v4, 4, v4
	s_waitcnt vmcnt(5)
	v_mul_f64 v[40:41], v[18:19], v[20:21]
	s_waitcnt vmcnt(4)
	v_mul_f64 v[14:15], v[8:9], v[26:27]
	s_waitcnt lgkmcnt(2)
	v_mul_f64 v[26:27], v[60:61], v[26:27]
	v_mul_f64 v[18:19], v[18:19], v[22:23]
	s_waitcnt vmcnt(3)
	v_mul_f64 v[54:55], v[12:13], v[28:29]
	v_fma_f64 v[14:15], v[60:61], v[24:25], -v[14:15]
	s_waitcnt lgkmcnt(0)
	v_fmac_f64_e32 v[40:41], v[68:69], v[22:23]
	v_fmac_f64_e32 v[26:27], v[8:9], v[24:25]
	v_mul_f64 v[8:9], v[12:13], v[30:31]
	v_fma_f64 v[12:13], v[68:69], v[20:21], -v[18:19]
	s_waitcnt vmcnt(2)
	v_mul_f64 v[18:19], v[6:7], v[34:35]
	s_waitcnt vmcnt(1)
	v_mul_f64 v[60:61], v[10:11], v[42:43]
	s_waitcnt vmcnt(0)
	v_mul_f64 v[20:21], v[16:17], v[46:47]
	v_mul_f64 v[22:23], v[58:59], v[34:35]
	v_mul_f64 v[10:11], v[10:11], v[44:45]
	;; [unrolled: 1-line block ×3, first 2 shown]
	v_fmac_f64_e32 v[54:55], v[64:65], v[30:31]
	v_add_f64 v[24:25], v[2:3], -v[26:27]
	v_fma_f64 v[26:27], v[64:65], v[28:29], -v[8:9]
	v_fma_f64 v[8:9], v[58:59], v[32:33], -v[18:19]
	v_fmac_f64_e32 v[60:61], v[62:63], v[44:45]
	v_fmac_f64_e32 v[20:21], v[66:67], v[48:49]
	;; [unrolled: 1-line block ×3, first 2 shown]
	v_fma_f64 v[18:19], v[62:63], v[42:43], -v[10:11]
	v_fma_f64 v[6:7], v[66:67], v[46:47], -v[16:17]
	v_add_f64 v[10:11], v[54:55], -v[40:41]
	v_add_f64 v[14:15], v[52:53], -v[14:15]
	;; [unrolled: 1-line block ×3, first 2 shown]
	v_fma_f64 v[30:31], v[2:3], 2.0, -v[24:25]
	v_add_f64 v[2:3], v[50:51], -v[8:9]
	v_add_f64 v[34:35], v[60:61], -v[20:21]
	;; [unrolled: 1-line block ×4, first 2 shown]
	v_fma_f64 v[22:23], v[54:55], 2.0, -v[10:11]
	v_add_f64 v[8:9], v[14:15], -v[10:11]
	v_add_f64 v[6:7], v[24:25], v[12:13]
	v_fma_f64 v[20:21], v[26:27], 2.0, -v[12:13]
	v_add_f64 v[12:13], v[2:3], -v[34:35]
	v_fma_f64 v[32:33], v[50:51], 2.0, -v[2:3]
	v_fma_f64 v[26:27], v[18:19], 2.0, -v[16:17]
	v_add_f64 v[18:19], v[30:31], -v[22:23]
	v_fma_f64 v[28:29], v[52:53], 2.0, -v[14:15]
	v_add_f64 v[10:11], v[40:41], v[16:17]
	v_fma_f64 v[16:17], v[14:15], 2.0, -v[8:9]
	v_fma_f64 v[14:15], v[24:25], 2.0, -v[6:7]
	;; [unrolled: 1-line block ×3, first 2 shown]
	v_add_f64 v[2:3], v[32:33], -v[26:27]
	v_fma_f64 v[26:27], v[30:31], 2.0, -v[18:19]
	v_fma_f64 v[30:31], v[0:1], 2.0, -v[40:41]
	;; [unrolled: 1-line block ×3, first 2 shown]
	v_lshl_add_u64 v[34:35], v[36:37], 4, s[6:7]
	v_add_f64 v[0:1], v[30:31], -v[0:1]
	v_lshl_add_u64 v[34:35], v[38:39], 4, v[34:35]
	v_fma_f64 v[32:33], v[32:33], 2.0, -v[2:3]
	v_fma_f64 v[30:31], v[30:31], 2.0, -v[0:1]
	v_lshl_add_u64 v[36:37], v[34:35], 0, v[4:5]
	global_store_dwordx4 v[36:37], v[30:33], off
	v_fma_f64 v[22:23], v[40:41], 2.0, -v[10:11]
	v_add_f64 v[20:21], v[28:29], -v[20:21]
	v_add_co_u32_e32 v30, vcc, s0, v36
	s_movk_i32 s0, 0x2000
	s_nop 0
	v_addc_co_u32_e32 v31, vcc, 0, v37, vcc
	global_store_dwordx4 v[30:31], v[22:25], off offset:512
	v_fma_f64 v[28:29], v[28:29], 2.0, -v[20:21]
	s_nop 0
	v_add_co_u32_e32 v22, vcc, s0, v36
	s_movk_i32 s0, 0x3000
	s_nop 0
	v_addc_co_u32_e32 v23, vcc, 0, v37, vcc
	global_store_dwordx4 v[22:23], v[0:3], off offset:1024
	s_nop 1
	v_add_co_u32_e32 v0, vcc, s0, v36
	s_movk_i32 s0, 0x480
	s_nop 0
	v_addc_co_u32_e32 v1, vcc, 0, v37, vcc
	global_store_dwordx4 v[0:1], v[10:13], off offset:1536
	v_add_u32_e32 v0, 0x90, v56
	v_mul_hi_u32 v1, v0, s1
	v_lshrrev_b32_e32 v1, 6, v1
	v_mul_u32_u24_e32 v2, 0x120, v1
	v_sub_u32_e32 v0, v0, v2
	v_mad_u32_u24 v4, v1, s0, v0
	v_lshl_add_u64 v[0:1], v[4:5], 4, v[34:35]
	global_store_dwordx4 v[0:1], v[26:29], off
	v_add_u32_e32 v0, 0x120, v4
	v_mov_b32_e32 v1, v5
	v_lshl_add_u64 v[0:1], v[0:1], 4, v[34:35]
	global_store_dwordx4 v[0:1], v[14:17], off
	v_add_u32_e32 v0, 0x240, v4
	v_mov_b32_e32 v1, v5
	v_lshl_add_u64 v[0:1], v[0:1], 4, v[34:35]
	v_add_u32_e32 v4, 0x360, v4
	global_store_dwordx4 v[0:1], v[18:21], off
	v_lshl_add_u64 v[0:1], v[4:5], 4, v[34:35]
	global_store_dwordx4 v[0:1], v[6:9], off
.LBB0_31:
	s_endpgm
	.section	.rodata,"a",@progbits
	.p2align	6, 0x0
	.amdhsa_kernel fft_rtc_back_len1152_factors_4_3_8_3_4_wgs_144_tpt_144_halfLds_dp_op_CI_CI_unitstride_sbrr_dirReg
		.amdhsa_group_segment_fixed_size 0
		.amdhsa_private_segment_fixed_size 0
		.amdhsa_kernarg_size 104
		.amdhsa_user_sgpr_count 2
		.amdhsa_user_sgpr_dispatch_ptr 0
		.amdhsa_user_sgpr_queue_ptr 0
		.amdhsa_user_sgpr_kernarg_segment_ptr 1
		.amdhsa_user_sgpr_dispatch_id 0
		.amdhsa_user_sgpr_kernarg_preload_length 0
		.amdhsa_user_sgpr_kernarg_preload_offset 0
		.amdhsa_user_sgpr_private_segment_size 0
		.amdhsa_uses_dynamic_stack 0
		.amdhsa_enable_private_segment 0
		.amdhsa_system_sgpr_workgroup_id_x 1
		.amdhsa_system_sgpr_workgroup_id_y 0
		.amdhsa_system_sgpr_workgroup_id_z 0
		.amdhsa_system_sgpr_workgroup_info 0
		.amdhsa_system_vgpr_workitem_id 0
		.amdhsa_next_free_vgpr 84
		.amdhsa_next_free_sgpr 28
		.amdhsa_accum_offset 84
		.amdhsa_reserve_vcc 1
		.amdhsa_float_round_mode_32 0
		.amdhsa_float_round_mode_16_64 0
		.amdhsa_float_denorm_mode_32 3
		.amdhsa_float_denorm_mode_16_64 3
		.amdhsa_dx10_clamp 1
		.amdhsa_ieee_mode 1
		.amdhsa_fp16_overflow 0
		.amdhsa_tg_split 0
		.amdhsa_exception_fp_ieee_invalid_op 0
		.amdhsa_exception_fp_denorm_src 0
		.amdhsa_exception_fp_ieee_div_zero 0
		.amdhsa_exception_fp_ieee_overflow 0
		.amdhsa_exception_fp_ieee_underflow 0
		.amdhsa_exception_fp_ieee_inexact 0
		.amdhsa_exception_int_div_zero 0
	.end_amdhsa_kernel
	.text
.Lfunc_end0:
	.size	fft_rtc_back_len1152_factors_4_3_8_3_4_wgs_144_tpt_144_halfLds_dp_op_CI_CI_unitstride_sbrr_dirReg, .Lfunc_end0-fft_rtc_back_len1152_factors_4_3_8_3_4_wgs_144_tpt_144_halfLds_dp_op_CI_CI_unitstride_sbrr_dirReg
                                        ; -- End function
	.section	.AMDGPU.csdata,"",@progbits
; Kernel info:
; codeLenInByte = 5952
; NumSgprs: 34
; NumVgprs: 84
; NumAgprs: 0
; TotalNumVgprs: 84
; ScratchSize: 0
; MemoryBound: 1
; FloatMode: 240
; IeeeMode: 1
; LDSByteSize: 0 bytes/workgroup (compile time only)
; SGPRBlocks: 4
; VGPRBlocks: 10
; NumSGPRsForWavesPerEU: 34
; NumVGPRsForWavesPerEU: 84
; AccumOffset: 84
; Occupancy: 5
; WaveLimiterHint : 1
; COMPUTE_PGM_RSRC2:SCRATCH_EN: 0
; COMPUTE_PGM_RSRC2:USER_SGPR: 2
; COMPUTE_PGM_RSRC2:TRAP_HANDLER: 0
; COMPUTE_PGM_RSRC2:TGID_X_EN: 1
; COMPUTE_PGM_RSRC2:TGID_Y_EN: 0
; COMPUTE_PGM_RSRC2:TGID_Z_EN: 0
; COMPUTE_PGM_RSRC2:TIDIG_COMP_CNT: 0
; COMPUTE_PGM_RSRC3_GFX90A:ACCUM_OFFSET: 20
; COMPUTE_PGM_RSRC3_GFX90A:TG_SPLIT: 0
	.text
	.p2alignl 6, 3212836864
	.fill 256, 4, 3212836864
	.type	__hip_cuid_cf9068b7ae1910e6,@object ; @__hip_cuid_cf9068b7ae1910e6
	.section	.bss,"aw",@nobits
	.globl	__hip_cuid_cf9068b7ae1910e6
__hip_cuid_cf9068b7ae1910e6:
	.byte	0                               ; 0x0
	.size	__hip_cuid_cf9068b7ae1910e6, 1

	.ident	"AMD clang version 19.0.0git (https://github.com/RadeonOpenCompute/llvm-project roc-6.4.0 25133 c7fe45cf4b819c5991fe208aaa96edf142730f1d)"
	.section	".note.GNU-stack","",@progbits
	.addrsig
	.addrsig_sym __hip_cuid_cf9068b7ae1910e6
	.amdgpu_metadata
---
amdhsa.kernels:
  - .agpr_count:     0
    .args:
      - .actual_access:  read_only
        .address_space:  global
        .offset:         0
        .size:           8
        .value_kind:     global_buffer
      - .offset:         8
        .size:           8
        .value_kind:     by_value
      - .actual_access:  read_only
        .address_space:  global
        .offset:         16
        .size:           8
        .value_kind:     global_buffer
      - .actual_access:  read_only
        .address_space:  global
        .offset:         24
        .size:           8
        .value_kind:     global_buffer
      - .actual_access:  read_only
        .address_space:  global
        .offset:         32
        .size:           8
        .value_kind:     global_buffer
      - .offset:         40
        .size:           8
        .value_kind:     by_value
      - .actual_access:  read_only
        .address_space:  global
        .offset:         48
        .size:           8
        .value_kind:     global_buffer
      - .actual_access:  read_only
        .address_space:  global
        .offset:         56
        .size:           8
        .value_kind:     global_buffer
      - .offset:         64
        .size:           4
        .value_kind:     by_value
      - .actual_access:  read_only
        .address_space:  global
        .offset:         72
        .size:           8
        .value_kind:     global_buffer
      - .actual_access:  read_only
        .address_space:  global
        .offset:         80
        .size:           8
        .value_kind:     global_buffer
      - .actual_access:  read_only
        .address_space:  global
        .offset:         88
        .size:           8
        .value_kind:     global_buffer
      - .actual_access:  write_only
        .address_space:  global
        .offset:         96
        .size:           8
        .value_kind:     global_buffer
    .group_segment_fixed_size: 0
    .kernarg_segment_align: 8
    .kernarg_segment_size: 104
    .language:       OpenCL C
    .language_version:
      - 2
      - 0
    .max_flat_workgroup_size: 144
    .name:           fft_rtc_back_len1152_factors_4_3_8_3_4_wgs_144_tpt_144_halfLds_dp_op_CI_CI_unitstride_sbrr_dirReg
    .private_segment_fixed_size: 0
    .sgpr_count:     34
    .sgpr_spill_count: 0
    .symbol:         fft_rtc_back_len1152_factors_4_3_8_3_4_wgs_144_tpt_144_halfLds_dp_op_CI_CI_unitstride_sbrr_dirReg.kd
    .uniform_work_group_size: 1
    .uses_dynamic_stack: false
    .vgpr_count:     84
    .vgpr_spill_count: 0
    .wavefront_size: 64
amdhsa.target:   amdgcn-amd-amdhsa--gfx950
amdhsa.version:
  - 1
  - 2
...

	.end_amdgpu_metadata
